;; amdgpu-corpus repo=ROCm/rocFFT kind=compiled arch=gfx1030 opt=O3
	.text
	.amdgcn_target "amdgcn-amd-amdhsa--gfx1030"
	.amdhsa_code_object_version 6
	.protected	fft_rtc_back_len1764_factors_2_2_3_3_7_7_wgs_126_tpt_126_halfLds_half_ip_CI_unitstride_sbrr_C2R_dirReg ; -- Begin function fft_rtc_back_len1764_factors_2_2_3_3_7_7_wgs_126_tpt_126_halfLds_half_ip_CI_unitstride_sbrr_C2R_dirReg
	.globl	fft_rtc_back_len1764_factors_2_2_3_3_7_7_wgs_126_tpt_126_halfLds_half_ip_CI_unitstride_sbrr_C2R_dirReg
	.p2align	8
	.type	fft_rtc_back_len1764_factors_2_2_3_3_7_7_wgs_126_tpt_126_halfLds_half_ip_CI_unitstride_sbrr_C2R_dirReg,@function
fft_rtc_back_len1764_factors_2_2_3_3_7_7_wgs_126_tpt_126_halfLds_half_ip_CI_unitstride_sbrr_C2R_dirReg: ; @fft_rtc_back_len1764_factors_2_2_3_3_7_7_wgs_126_tpt_126_halfLds_half_ip_CI_unitstride_sbrr_C2R_dirReg
; %bb.0:
	s_clause 0x2
	s_load_dwordx4 s[8:11], s[4:5], 0x0
	s_load_dwordx2 s[2:3], s[4:5], 0x50
	s_load_dwordx2 s[12:13], s[4:5], 0x18
	v_mul_u32_u24_e32 v1, 0x209, v0
	v_mov_b32_e32 v3, 0
	v_add_nc_u32_sdwa v5, s6, v1 dst_sel:DWORD dst_unused:UNUSED_PAD src0_sel:DWORD src1_sel:WORD_1
	v_mov_b32_e32 v1, 0
	v_mov_b32_e32 v6, v3
	v_mov_b32_e32 v2, 0
	s_waitcnt lgkmcnt(0)
	v_cmp_lt_u64_e64 s0, s[10:11], 2
	s_and_b32 vcc_lo, exec_lo, s0
	s_cbranch_vccnz .LBB0_8
; %bb.1:
	s_load_dwordx2 s[0:1], s[4:5], 0x10
	v_mov_b32_e32 v1, 0
	s_add_u32 s6, s12, 8
	v_mov_b32_e32 v2, 0
	s_addc_u32 s7, s13, 0
	s_mov_b64 s[16:17], 1
	s_waitcnt lgkmcnt(0)
	s_add_u32 s14, s0, 8
	s_addc_u32 s15, s1, 0
.LBB0_2:                                ; =>This Inner Loop Header: Depth=1
	s_load_dwordx2 s[18:19], s[14:15], 0x0
                                        ; implicit-def: $vgpr7_vgpr8
	s_mov_b32 s0, exec_lo
	s_waitcnt lgkmcnt(0)
	v_or_b32_e32 v4, s19, v6
	v_cmpx_ne_u64_e32 0, v[3:4]
	s_xor_b32 s1, exec_lo, s0
	s_cbranch_execz .LBB0_4
; %bb.3:                                ;   in Loop: Header=BB0_2 Depth=1
	v_cvt_f32_u32_e32 v4, s18
	v_cvt_f32_u32_e32 v7, s19
	s_sub_u32 s0, 0, s18
	s_subb_u32 s20, 0, s19
	v_fmac_f32_e32 v4, 0x4f800000, v7
	v_rcp_f32_e32 v4, v4
	v_mul_f32_e32 v4, 0x5f7ffffc, v4
	v_mul_f32_e32 v7, 0x2f800000, v4
	v_trunc_f32_e32 v7, v7
	v_fmac_f32_e32 v4, 0xcf800000, v7
	v_cvt_u32_f32_e32 v7, v7
	v_cvt_u32_f32_e32 v4, v4
	v_mul_lo_u32 v8, s0, v7
	v_mul_hi_u32 v9, s0, v4
	v_mul_lo_u32 v10, s20, v4
	v_add_nc_u32_e32 v8, v9, v8
	v_mul_lo_u32 v9, s0, v4
	v_add_nc_u32_e32 v8, v8, v10
	v_mul_hi_u32 v10, v4, v9
	v_mul_lo_u32 v11, v4, v8
	v_mul_hi_u32 v12, v4, v8
	v_mul_hi_u32 v13, v7, v9
	v_mul_lo_u32 v9, v7, v9
	v_mul_hi_u32 v14, v7, v8
	v_mul_lo_u32 v8, v7, v8
	v_add_co_u32 v10, vcc_lo, v10, v11
	v_add_co_ci_u32_e32 v11, vcc_lo, 0, v12, vcc_lo
	v_add_co_u32 v9, vcc_lo, v10, v9
	v_add_co_ci_u32_e32 v9, vcc_lo, v11, v13, vcc_lo
	v_add_co_ci_u32_e32 v10, vcc_lo, 0, v14, vcc_lo
	v_add_co_u32 v8, vcc_lo, v9, v8
	v_add_co_ci_u32_e32 v9, vcc_lo, 0, v10, vcc_lo
	v_add_co_u32 v4, vcc_lo, v4, v8
	v_add_co_ci_u32_e32 v7, vcc_lo, v7, v9, vcc_lo
	v_mul_hi_u32 v8, s0, v4
	v_mul_lo_u32 v10, s20, v4
	v_mul_lo_u32 v9, s0, v7
	v_add_nc_u32_e32 v8, v8, v9
	v_mul_lo_u32 v9, s0, v4
	v_add_nc_u32_e32 v8, v8, v10
	v_mul_hi_u32 v10, v4, v9
	v_mul_lo_u32 v11, v4, v8
	v_mul_hi_u32 v12, v4, v8
	v_mul_hi_u32 v13, v7, v9
	v_mul_lo_u32 v9, v7, v9
	v_mul_hi_u32 v14, v7, v8
	v_mul_lo_u32 v8, v7, v8
	v_add_co_u32 v10, vcc_lo, v10, v11
	v_add_co_ci_u32_e32 v11, vcc_lo, 0, v12, vcc_lo
	v_add_co_u32 v9, vcc_lo, v10, v9
	v_add_co_ci_u32_e32 v9, vcc_lo, v11, v13, vcc_lo
	v_add_co_ci_u32_e32 v10, vcc_lo, 0, v14, vcc_lo
	v_add_co_u32 v8, vcc_lo, v9, v8
	v_add_co_ci_u32_e32 v9, vcc_lo, 0, v10, vcc_lo
	v_add_co_u32 v4, vcc_lo, v4, v8
	v_add_co_ci_u32_e32 v11, vcc_lo, v7, v9, vcc_lo
	v_mul_hi_u32 v13, v5, v4
	v_mad_u64_u32 v[9:10], null, v6, v4, 0
	v_mad_u64_u32 v[7:8], null, v5, v11, 0
	;; [unrolled: 1-line block ×3, first 2 shown]
	v_add_co_u32 v4, vcc_lo, v13, v7
	v_add_co_ci_u32_e32 v7, vcc_lo, 0, v8, vcc_lo
	v_add_co_u32 v4, vcc_lo, v4, v9
	v_add_co_ci_u32_e32 v4, vcc_lo, v7, v10, vcc_lo
	v_add_co_ci_u32_e32 v7, vcc_lo, 0, v12, vcc_lo
	v_add_co_u32 v4, vcc_lo, v4, v11
	v_add_co_ci_u32_e32 v9, vcc_lo, 0, v7, vcc_lo
	v_mul_lo_u32 v10, s19, v4
	v_mad_u64_u32 v[7:8], null, s18, v4, 0
	v_mul_lo_u32 v11, s18, v9
	v_sub_co_u32 v7, vcc_lo, v5, v7
	v_add3_u32 v8, v8, v11, v10
	v_sub_nc_u32_e32 v10, v6, v8
	v_subrev_co_ci_u32_e64 v10, s0, s19, v10, vcc_lo
	v_add_co_u32 v11, s0, v4, 2
	v_add_co_ci_u32_e64 v12, s0, 0, v9, s0
	v_sub_co_u32 v13, s0, v7, s18
	v_sub_co_ci_u32_e32 v8, vcc_lo, v6, v8, vcc_lo
	v_subrev_co_ci_u32_e64 v10, s0, 0, v10, s0
	v_cmp_le_u32_e32 vcc_lo, s18, v13
	v_cmp_eq_u32_e64 s0, s19, v8
	v_cndmask_b32_e64 v13, 0, -1, vcc_lo
	v_cmp_le_u32_e32 vcc_lo, s19, v10
	v_cndmask_b32_e64 v14, 0, -1, vcc_lo
	v_cmp_le_u32_e32 vcc_lo, s18, v7
	;; [unrolled: 2-line block ×3, first 2 shown]
	v_cndmask_b32_e64 v15, 0, -1, vcc_lo
	v_cmp_eq_u32_e32 vcc_lo, s19, v10
	v_cndmask_b32_e64 v7, v15, v7, s0
	v_cndmask_b32_e32 v10, v14, v13, vcc_lo
	v_add_co_u32 v13, vcc_lo, v4, 1
	v_add_co_ci_u32_e32 v14, vcc_lo, 0, v9, vcc_lo
	v_cmp_ne_u32_e32 vcc_lo, 0, v10
	v_cndmask_b32_e32 v8, v14, v12, vcc_lo
	v_cndmask_b32_e32 v10, v13, v11, vcc_lo
	v_cmp_ne_u32_e32 vcc_lo, 0, v7
	v_cndmask_b32_e32 v8, v9, v8, vcc_lo
	v_cndmask_b32_e32 v7, v4, v10, vcc_lo
.LBB0_4:                                ;   in Loop: Header=BB0_2 Depth=1
	s_andn2_saveexec_b32 s0, s1
	s_cbranch_execz .LBB0_6
; %bb.5:                                ;   in Loop: Header=BB0_2 Depth=1
	v_cvt_f32_u32_e32 v4, s18
	s_sub_i32 s1, 0, s18
	v_rcp_iflag_f32_e32 v4, v4
	v_mul_f32_e32 v4, 0x4f7ffffe, v4
	v_cvt_u32_f32_e32 v4, v4
	v_mul_lo_u32 v7, s1, v4
	v_mul_hi_u32 v7, v4, v7
	v_add_nc_u32_e32 v4, v4, v7
	v_mul_hi_u32 v4, v5, v4
	v_mul_lo_u32 v7, v4, s18
	v_add_nc_u32_e32 v8, 1, v4
	v_sub_nc_u32_e32 v7, v5, v7
	v_subrev_nc_u32_e32 v9, s18, v7
	v_cmp_le_u32_e32 vcc_lo, s18, v7
	v_cndmask_b32_e32 v7, v7, v9, vcc_lo
	v_cndmask_b32_e32 v4, v4, v8, vcc_lo
	v_cmp_le_u32_e32 vcc_lo, s18, v7
	v_add_nc_u32_e32 v8, 1, v4
	v_cndmask_b32_e32 v7, v4, v8, vcc_lo
	v_mov_b32_e32 v8, v3
.LBB0_6:                                ;   in Loop: Header=BB0_2 Depth=1
	s_or_b32 exec_lo, exec_lo, s0
	s_load_dwordx2 s[0:1], s[6:7], 0x0
	v_mul_lo_u32 v4, v8, s18
	v_mul_lo_u32 v11, v7, s19
	v_mad_u64_u32 v[9:10], null, v7, s18, 0
	s_add_u32 s16, s16, 1
	s_addc_u32 s17, s17, 0
	s_add_u32 s6, s6, 8
	s_addc_u32 s7, s7, 0
	;; [unrolled: 2-line block ×3, first 2 shown]
	v_add3_u32 v4, v10, v11, v4
	v_sub_co_u32 v5, vcc_lo, v5, v9
	v_sub_co_ci_u32_e32 v4, vcc_lo, v6, v4, vcc_lo
	s_waitcnt lgkmcnt(0)
	v_mul_lo_u32 v6, s1, v5
	v_mul_lo_u32 v4, s0, v4
	v_mad_u64_u32 v[1:2], null, s0, v5, v[1:2]
	v_cmp_ge_u64_e64 s0, s[16:17], s[10:11]
	s_and_b32 vcc_lo, exec_lo, s0
	v_add3_u32 v2, v6, v2, v4
	s_cbranch_vccnz .LBB0_9
; %bb.7:                                ;   in Loop: Header=BB0_2 Depth=1
	v_mov_b32_e32 v5, v7
	v_mov_b32_e32 v6, v8
	s_branch .LBB0_2
.LBB0_8:
	v_mov_b32_e32 v8, v6
	v_mov_b32_e32 v7, v5
.LBB0_9:
	s_lshl_b64 s[0:1], s[10:11], 3
	v_mul_hi_u32 v5, 0x2082083, v0
	s_add_u32 s0, s12, s0
	s_addc_u32 s1, s13, s1
	s_load_dwordx2 s[0:1], s[0:1], 0x0
	s_load_dwordx2 s[4:5], s[4:5], 0x20
	s_waitcnt lgkmcnt(0)
	v_mul_lo_u32 v3, s0, v8
	v_mul_lo_u32 v4, s1, v7
	v_mad_u64_u32 v[1:2], null, s0, v7, v[1:2]
	v_cmp_gt_u64_e32 vcc_lo, s[4:5], v[7:8]
	v_add3_u32 v2, v4, v2, v3
	v_mul_u32_u24_e32 v4, 0x7e, v5
	v_lshlrev_b64 v[2:3], 2, v[1:2]
	v_sub_nc_u32_e32 v0, v0, v4
	s_and_saveexec_b32 s1, vcc_lo
	s_cbranch_execz .LBB0_13
; %bb.10:
	v_mov_b32_e32 v1, 0
	v_add_co_u32 v4, s0, s2, v2
	v_add_co_ci_u32_e64 v5, s0, s3, v3, s0
	v_lshlrev_b64 v[6:7], 2, v[0:1]
	s_mov_b32 s4, exec_lo
	v_add_co_u32 v6, s0, v4, v6
	v_add_co_ci_u32_e64 v7, s0, v5, v7, s0
	v_add_co_u32 v8, s0, 0x800, v6
	v_add_co_ci_u32_e64 v9, s0, 0, v7, s0
	;; [unrolled: 2-line block ×3, first 2 shown]
	s_clause 0x7
	global_load_dword v12, v[6:7], off
	global_load_dword v13, v[6:7], off offset:504
	global_load_dword v14, v[6:7], off offset:1008
	;; [unrolled: 1-line block ×7, first 2 shown]
	v_add_co_u32 v6, s0, 0x1800, v6
	v_add_co_ci_u32_e64 v7, s0, 0, v7, s0
	s_clause 0x5
	global_load_dword v8, v[8:9], off offset:1984
	global_load_dword v9, v[10:11], off offset:440
	;; [unrolled: 1-line block ×6, first 2 shown]
	v_lshl_add_u32 v7, v0, 2, 0
	v_add_nc_u32_e32 v11, 0x200, v7
	v_add_nc_u32_e32 v22, 0x600, v7
	;; [unrolled: 1-line block ×6, first 2 shown]
	s_waitcnt vmcnt(12)
	ds_write2_b32 v7, v12, v13 offset1:126
	s_waitcnt vmcnt(10)
	ds_write2_b32 v11, v14, v15 offset0:124 offset1:250
	s_waitcnt vmcnt(8)
	ds_write2_b32 v22, v16, v17 offset0:120 offset1:246
	;; [unrolled: 2-line block ×6, first 2 shown]
	v_cmpx_eq_u32_e32 0x7d, v0
	s_cbranch_execz .LBB0_12
; %bb.11:
	v_add_co_u32 v4, s0, 0x1800, v4
	v_add_co_ci_u32_e64 v5, s0, 0, v5, s0
	v_mov_b32_e32 v0, 0x7d
	global_load_dword v4, v[4:5], off offset:912
	s_waitcnt vmcnt(0)
	ds_write_b32 v1, v4 offset:7056
.LBB0_12:
	s_or_b32 exec_lo, exec_lo, s4
.LBB0_13:
	s_or_b32 exec_lo, exec_lo, s1
	v_lshlrev_b32_e32 v1, 2, v0
	s_waitcnt lgkmcnt(0)
	s_barrier
	buffer_gl0_inv
	s_add_u32 s1, s8, 0x1b88
	v_add_nc_u32_e32 v16, 0, v1
	v_sub_nc_u32_e32 v6, 0, v1
	s_addc_u32 s4, s9, 0
	s_mov_b32 s5, exec_lo
                                        ; implicit-def: $vgpr4_vgpr5
	ds_read_u16 v9, v16
	ds_read_u16 v10, v6 offset:7056
	s_waitcnt lgkmcnt(0)
	v_add_f16_e32 v8, v10, v9
	v_sub_f16_e32 v7, v9, v10
	v_cmpx_ne_u32_e32 0, v0
	s_xor_b32 s5, exec_lo, s5
	s_cbranch_execz .LBB0_15
; %bb.14:
	v_mov_b32_e32 v1, 0
	v_add_f16_e32 v8, v10, v9
	v_sub_f16_e32 v9, v9, v10
	v_lshlrev_b64 v[4:5], 2, v[0:1]
	v_add_co_u32 v4, s0, s1, v4
	v_add_co_ci_u32_e64 v5, s0, s4, v5, s0
	global_load_dword v4, v[4:5], off
	ds_read_u16 v5, v6 offset:7058
	ds_read_u16 v7, v16 offset:2
	s_waitcnt lgkmcnt(0)
	v_add_f16_e32 v10, v5, v7
	v_sub_f16_e32 v5, v7, v5
	s_waitcnt vmcnt(0)
	v_lshrrev_b32_e32 v11, 16, v4
	v_fma_f16 v12, -v9, v11, v8
	v_fma_f16 v13, v10, v11, -v5
	v_fma_f16 v7, v10, v11, v5
	v_fma_f16 v8, v9, v11, v8
	v_fmac_f16_e32 v12, v4, v10
	v_fmac_f16_e32 v13, v9, v4
	;; [unrolled: 1-line block ×3, first 2 shown]
	v_fma_f16 v8, -v4, v10, v8
	v_mov_b32_e32 v5, v1
	v_mov_b32_e32 v4, v0
	v_pack_b32_f16 v9, v12, v13
	ds_write_b32 v6, v9 offset:7056
.LBB0_15:
	s_andn2_saveexec_b32 s0, s5
	s_cbranch_execz .LBB0_17
; %bb.16:
	v_mov_b32_e32 v1, 0
	ds_read_b32 v4, v1 offset:3528
	s_waitcnt lgkmcnt(0)
	v_pk_mul_f16 v9, 0xc0004000, v4
	v_mov_b32_e32 v4, 0
	v_mov_b32_e32 v5, 0
	ds_write_b32 v1, v9 offset:3528
.LBB0_17:
	s_or_b32 exec_lo, exec_lo, s0
	v_lshlrev_b64 v[4:5], 2, v[4:5]
	v_add_nc_u32_e32 v18, 0xa00, v16
	v_add_nc_u32_e32 v23, 0xe00, v16
	;; [unrolled: 1-line block ×5, first 2 shown]
	v_add_co_u32 v4, s0, s1, v4
	v_add_co_ci_u32_e64 v5, s0, s4, v5, s0
	v_add_nc_u32_e32 v27, 0x1600, v16
	v_and_b32_e32 v31, 1, v0
	v_add_nc_u32_e32 v20, 0xfc, v0
	s_clause 0x3
	global_load_dword v1, v[4:5], off offset:504
	global_load_dword v9, v[4:5], off offset:1008
	;; [unrolled: 1-line block ×4, first 2 shown]
	v_add_co_u32 v4, s0, 0x800, v4
	v_add_co_ci_u32_e64 v5, s0, 0, v5, s0
	v_add_nc_u32_e32 v19, 0x17a, v0
	v_add_nc_u32_e32 v28, 0x276, v0
	s_clause 0x1
	global_load_dword v12, v[4:5], off offset:472
	global_load_dword v4, v[4:5], off offset:976
	v_perm_b32 v5, v7, v8, 0x5040100
	v_add_nc_u32_e32 v29, 0x2f4, v0
	v_lshl_add_u32 v30, v0, 2, v16
	v_lshlrev_b32_e32 v38, 2, v31
	v_lshl_add_u32 v33, v20, 3, 0
	ds_write_b32 v16, v5
	ds_read_b32 v5, v16 offset:504
	ds_read_b32 v7, v6 offset:6552
	v_lshl_add_u32 v34, v19, 3, 0
	v_lshl_add_u32 v36, v28, 3, 0
	;; [unrolled: 1-line block ×3, first 2 shown]
	v_cmp_gt_u32_e64 s0, 0x54, v0
	s_waitcnt lgkmcnt(0)
	v_add_f16_e32 v8, v5, v7
	v_add_f16_sdwa v13, v7, v5 dst_sel:DWORD dst_unused:UNUSED_PAD src0_sel:WORD_1 src1_sel:WORD_1
	v_sub_f16_e32 v14, v5, v7
	v_sub_f16_sdwa v5, v5, v7 dst_sel:DWORD dst_unused:UNUSED_PAD src0_sel:WORD_1 src1_sel:WORD_1
	s_waitcnt vmcnt(5)
	v_lshrrev_b32_e32 v15, 16, v1
	v_fma_f16 v7, v14, v15, v8
	v_fma_f16 v17, v13, v15, v5
	v_fma_f16 v8, -v14, v15, v8
	v_fma_f16 v5, v13, v15, -v5
	v_fma_f16 v7, -v1, v13, v7
	v_fmac_f16_e32 v17, v14, v1
	v_fmac_f16_e32 v8, v1, v13
	;; [unrolled: 1-line block ×3, first 2 shown]
	v_pack_b32_f16 v1, v7, v17
	s_waitcnt vmcnt(4)
	v_lshrrev_b32_e32 v7, 16, v9
	v_pack_b32_f16 v5, v8, v5
	v_add_nc_u32_e32 v17, 0x1f8, v0
	ds_write_b32 v16, v1 offset:504
	ds_write_b32 v6, v5 offset:6552
	ds_read_b32 v1, v16 offset:1008
	ds_read_b32 v5, v6 offset:6048
	v_lshl_add_u32 v35, v17, 3, 0
	s_waitcnt lgkmcnt(0)
	v_add_f16_e32 v8, v1, v5
	v_add_f16_sdwa v13, v5, v1 dst_sel:DWORD dst_unused:UNUSED_PAD src0_sel:WORD_1 src1_sel:WORD_1
	v_sub_f16_e32 v14, v1, v5
	v_sub_f16_sdwa v1, v1, v5 dst_sel:DWORD dst_unused:UNUSED_PAD src0_sel:WORD_1 src1_sel:WORD_1
	v_fma_f16 v5, v14, v7, v8
	v_fma_f16 v15, v13, v7, v1
	v_fma_f16 v8, -v14, v7, v8
	v_fma_f16 v1, v13, v7, -v1
	s_waitcnt vmcnt(3)
	v_lshrrev_b32_e32 v7, 16, v10
	v_fma_f16 v5, -v9, v13, v5
	v_fmac_f16_e32 v15, v14, v9
	v_fmac_f16_e32 v8, v9, v13
	v_fmac_f16_e32 v1, v14, v9
	v_pack_b32_f16 v5, v5, v15
	v_pack_b32_f16 v1, v8, v1
	ds_write_b32 v16, v5 offset:1008
	ds_write_b32 v6, v1 offset:6048
	ds_read_b32 v1, v16 offset:1512
	ds_read_b32 v5, v6 offset:5544
	s_waitcnt lgkmcnt(0)
	v_add_f16_e32 v8, v1, v5
	v_add_f16_sdwa v9, v5, v1 dst_sel:DWORD dst_unused:UNUSED_PAD src0_sel:WORD_1 src1_sel:WORD_1
	v_sub_f16_e32 v13, v1, v5
	v_sub_f16_sdwa v1, v1, v5 dst_sel:DWORD dst_unused:UNUSED_PAD src0_sel:WORD_1 src1_sel:WORD_1
	v_fma_f16 v5, v13, v7, v8
	v_fma_f16 v14, v9, v7, v1
	v_fma_f16 v8, -v13, v7, v8
	v_fma_f16 v1, v9, v7, -v1
	s_waitcnt vmcnt(2)
	v_lshrrev_b32_e32 v7, 16, v11
	v_fma_f16 v5, -v10, v9, v5
	v_fmac_f16_e32 v14, v13, v10
	v_fmac_f16_e32 v8, v10, v9
	v_fmac_f16_e32 v1, v13, v10
	v_pack_b32_f16 v5, v5, v14
	v_pack_b32_f16 v1, v8, v1
	ds_write_b32 v16, v5 offset:1512
	ds_write_b32 v6, v1 offset:5544
	ds_read_b32 v1, v16 offset:2016
	ds_read_b32 v5, v6 offset:5040
	;; [unrolled: 21-line block ×4, first 2 shown]
	s_waitcnt lgkmcnt(0)
	v_add_f16_e32 v8, v1, v5
	v_add_f16_sdwa v9, v5, v1 dst_sel:DWORD dst_unused:UNUSED_PAD src0_sel:WORD_1 src1_sel:WORD_1
	v_sub_f16_e32 v10, v1, v5
	v_sub_f16_sdwa v5, v1, v5 dst_sel:DWORD dst_unused:UNUSED_PAD src0_sel:WORD_1 src1_sel:WORD_1
	v_add_nc_u32_e32 v1, 0x7e, v0
	v_fma_f16 v11, v10, v7, v8
	v_fma_f16 v12, v9, v7, v5
	v_fma_f16 v8, -v10, v7, v8
	v_fma_f16 v5, v9, v7, -v5
	v_lshl_add_u32 v32, v1, 3, 0
	v_fma_f16 v7, -v4, v9, v11
	v_fmac_f16_e32 v12, v10, v4
	v_fmac_f16_e32 v8, v4, v9
	;; [unrolled: 1-line block ×3, first 2 shown]
	v_pack_b32_f16 v4, v7, v12
	v_pack_b32_f16 v5, v8, v5
	ds_write_b32 v16, v4 offset:3024
	ds_write_b32 v6, v5 offset:4032
	s_waitcnt lgkmcnt(0)
	s_barrier
	buffer_gl0_inv
	s_barrier
	buffer_gl0_inv
	ds_read2_b32 v[4:5], v16 offset1:126
	ds_read2_b32 v[6:7], v18 offset0:116 offset1:242
	ds_read2_b32 v[8:9], v23 offset0:112 offset1:238
	;; [unrolled: 1-line block ×6, first 2 shown]
	s_waitcnt lgkmcnt(0)
	s_barrier
	buffer_gl0_inv
	v_pk_add_f16 v7, v4, v7 neg_lo:[0,1] neg_hi:[0,1]
	v_pk_add_f16 v8, v5, v8 neg_lo:[0,1] neg_hi:[0,1]
	;; [unrolled: 1-line block ×7, first 2 shown]
	v_pk_fma_f16 v4, v4, 2.0, v7 op_sel_hi:[1,0,1] neg_lo:[0,0,1] neg_hi:[0,0,1]
	v_pk_fma_f16 v5, v5, 2.0, v8 op_sel_hi:[1,0,1] neg_lo:[0,0,1] neg_hi:[0,0,1]
	;; [unrolled: 1-line block ×7, first 2 shown]
	ds_write2_b32 v30, v4, v7 offset1:1
	ds_write2_b32 v32, v5, v8 offset1:1
	;; [unrolled: 1-line block ×7, first 2 shown]
	s_waitcnt lgkmcnt(0)
	s_barrier
	buffer_gl0_inv
	global_load_dword v21, v38, s[8:9]
	v_lshlrev_b32_e32 v4, 1, v0
	v_lshlrev_b32_e32 v5, 1, v1
	;; [unrolled: 1-line block ×5, first 2 shown]
	v_and_or_b32 v4, 0xfc, v4, v31
	v_lshlrev_b32_e32 v10, 1, v28
	v_and_or_b32 v13, 0x1fc, v5, v31
	v_and_or_b32 v14, 0x3fc, v6, v31
	;; [unrolled: 1-line block ×3, first 2 shown]
	v_lshl_add_u32 v28, v4, 2, 0
	ds_read2_b32 v[4:5], v27 offset0:104 offset1:230
	ds_read2_b32 v[6:7], v26 offset0:108 offset1:234
	v_and_or_b32 v22, 0x7fc, v8, v31
	ds_read2_b32 v[8:9], v23 offset0:112 offset1:238
	v_and_or_b32 v23, 0x5fc, v10, v31
	ds_read2_b32 v[10:11], v18 offset0:116 offset1:242
	v_lshlrev_b32_e32 v12, 1, v29
	v_lshl_add_u32 v29, v13, 2, 0
	v_lshl_add_u32 v33, v15, 2, 0
	;; [unrolled: 1-line block ×4, first 2 shown]
	v_and_or_b32 v12, 0x7fc, v12, v31
	v_lshl_add_u32 v31, v14, 2, 0
	v_add_nc_u32_e32 v30, 0x800, v16
	v_add_nc_u32_e32 v32, 0xc00, v16
	v_lshl_add_u32 v36, v12, 2, 0
	ds_read2_b32 v[12:13], v16 offset1:126
	ds_read2_b32 v[14:15], v25 offset0:124 offset1:250
	ds_read2_b32 v[23:24], v24 offset0:120 offset1:246
	s_waitcnt vmcnt(0) lgkmcnt(0)
	s_barrier
	buffer_gl0_inv
	v_pk_mul_f16 v18, v21, v5 op_sel:[0,1]
	v_pk_mul_f16 v22, v21, v4 op_sel:[0,1]
	;; [unrolled: 1-line block ×7, first 2 shown]
	v_pk_fma_f16 v42, v21, v5, v18 op_sel:[0,0,1] op_sel_hi:[1,1,0]
	v_pk_fma_f16 v5, v21, v5, v18 op_sel:[0,0,1] op_sel_hi:[1,0,0] neg_lo:[1,0,0] neg_hi:[1,0,0]
	v_pk_fma_f16 v18, v21, v4, v22 op_sel:[0,0,1] op_sel_hi:[1,1,0]
	v_pk_fma_f16 v4, v21, v4, v22 op_sel:[0,0,1] op_sel_hi:[1,0,0] neg_lo:[1,0,0] neg_hi:[1,0,0]
	;; [unrolled: 2-line block ×7, first 2 shown]
	v_bfi_b32 v5, 0xffff, v42, v5
	v_bfi_b32 v7, 0xffff, v22, v7
	;; [unrolled: 1-line block ×7, first 2 shown]
	v_pk_add_f16 v22, v10, v5 neg_lo:[0,1] neg_hi:[0,1]
	v_pk_add_f16 v5, v23, v7 neg_lo:[0,1] neg_hi:[0,1]
	;; [unrolled: 1-line block ×7, first 2 shown]
	v_pk_fma_f16 v11, v12, 2.0, v7 op_sel_hi:[1,0,1] neg_lo:[0,0,1] neg_hi:[0,0,1]
	v_pk_fma_f16 v12, v13, 2.0, v8 op_sel_hi:[1,0,1] neg_lo:[0,0,1] neg_hi:[0,0,1]
	;; [unrolled: 1-line block ×7, first 2 shown]
	ds_write2_b32 v28, v11, v7 offset1:2
	ds_write2_b32 v29, v12, v8 offset1:2
	;; [unrolled: 1-line block ×7, first 2 shown]
	s_waitcnt lgkmcnt(0)
	s_barrier
	buffer_gl0_inv
	ds_read2_b32 v[6:7], v16 offset1:126
	ds_read2_b32 v[14:15], v30 offset0:76 offset1:202
	ds_read2_b32 v[12:13], v26 offset0:24 offset1:150
	;; [unrolled: 1-line block ×5, first 2 shown]
	v_lshrrev_b32_e32 v21, 16, v18
	v_lshrrev_b32_e32 v23, 16, v22
                                        ; implicit-def: $vgpr25
                                        ; implicit-def: $vgpr24
	s_and_saveexec_b32 s1, s0
	s_cbranch_execz .LBB0_19
; %bb.18:
	ds_read_b32 v18, v16 offset:2016
	ds_read_b32 v22, v16 offset:4368
	ds_read_b32 v24, v16 offset:6720
	s_waitcnt lgkmcnt(2)
	v_lshrrev_b32_e32 v21, 16, v18
	s_waitcnt lgkmcnt(1)
	v_lshrrev_b32_e32 v23, 16, v22
	;; [unrolled: 2-line block ×3, first 2 shown]
.LBB0_19:
	s_or_b32 exec_lo, exec_lo, s1
	v_and_b32_e32 v26, 3, v0
	v_and_b32_e32 v29, 3, v19
	;; [unrolled: 1-line block ×3, first 2 shown]
	v_lshrrev_b32_e32 v48, 2, v1
	v_lshrrev_b32_e32 v49, 2, v20
	v_lshlrev_b32_e32 v27, 3, v26
	v_lshlrev_b32_e32 v30, 3, v29
	;; [unrolled: 1-line block ×3, first 2 shown]
	v_lshrrev_b32_e32 v50, 2, v19
	s_waitcnt lgkmcnt(4)
	v_lshrrev_b32_e32 v40, 16, v14
	s_clause 0x5
	global_load_dwordx2 v[27:28], v27, s[8:9] offset:8
	global_load_dword v32, v30, s[8:9] offset:8
	global_load_dword v33, v30, s[8:9] offset:10
	;; [unrolled: 1-line block ×3, first 2 shown]
	global_load_ushort v30, v30, s[8:9] offset:14
	global_load_ushort v35, v35, s[8:9] offset:8
	s_waitcnt lgkmcnt(3)
	v_lshrrev_b32_e32 v41, 16, v12
	v_lshrrev_b32_e32 v42, 16, v15
	v_mul_u32_u24_e32 v48, 12, v48
	v_mul_u32_u24_e32 v49, 12, v49
	;; [unrolled: 1-line block ×3, first 2 shown]
	v_lshrrev_b32_e32 v43, 16, v13
	s_waitcnt lgkmcnt(1)
	v_lshrrev_b32_e32 v44, 16, v8
	s_waitcnt lgkmcnt(0)
	v_lshrrev_b32_e32 v45, 16, v10
	v_lshrrev_b32_e32 v46, 16, v9
	;; [unrolled: 1-line block ×3, first 2 shown]
	v_or_b32_e32 v31, v48, v31
	v_or_b32_e32 v48, v49, v26
	;; [unrolled: 1-line block ×3, first 2 shown]
	v_lshrrev_b32_e32 v36, 16, v6
	v_lshrrev_b32_e32 v37, 16, v7
	;; [unrolled: 1-line block ×5, first 2 shown]
	v_lshl_add_u32 v31, v31, 2, 0
	v_lshl_add_u32 v48, v48, 2, 0
	s_waitcnt vmcnt(0)
	s_barrier
	v_mul_u32_u24_e32 v47, 12, v47
	buffer_gl0_inv
	v_lshl_add_u32 v29, v29, 2, 0
	v_or_b32_e32 v47, v47, v26
	v_lshl_add_u32 v47, v47, 2, 0
	v_mul_f16_sdwa v54, v32, v42 dst_sel:DWORD dst_unused:UNUSED_PAD src0_sel:WORD_1 src1_sel:DWORD
	v_mul_f16_sdwa v49, v27, v40 dst_sel:DWORD dst_unused:UNUSED_PAD src0_sel:WORD_1 src1_sel:DWORD
	;; [unrolled: 1-line block ×6, first 2 shown]
	v_lshrrev_b32_e32 v56, 16, v33
	v_mul_f16_sdwa v57, v34, v43 dst_sel:DWORD dst_unused:UNUSED_PAD src0_sel:WORD_1 src1_sel:DWORD
	v_mul_f16_sdwa v58, v34, v13 dst_sel:DWORD dst_unused:UNUSED_PAD src0_sel:WORD_1 src1_sel:DWORD
	;; [unrolled: 1-line block ×6, first 2 shown]
	v_fmac_f16_e32 v49, v27, v14
	v_fmac_f16_e32 v54, v35, v15
	v_mul_f16_e32 v14, v33, v46
	v_mul_f16_e32 v15, v33, v9
	;; [unrolled: 1-line block ×4, first 2 shown]
	v_fma_f16 v35, v35, v42, -v55
	v_mul_f16_sdwa v42, v23, v27 dst_sel:DWORD dst_unused:UNUSED_PAD src0_sel:DWORD src1_sel:WORD_1
	v_mul_f16_sdwa v55, v22, v27 dst_sel:DWORD dst_unused:UNUSED_PAD src0_sel:DWORD src1_sel:WORD_1
	v_fma_f16 v40, v27, v40, -v50
	v_mul_f16_sdwa v50, v25, v28 dst_sel:DWORD dst_unused:UNUSED_PAD src0_sel:DWORD src1_sel:WORD_1
	v_fma_f16 v41, v28, v41, -v53
	v_mul_f16_sdwa v53, v24, v28 dst_sel:DWORD dst_unused:UNUSED_PAD src0_sel:DWORD src1_sel:WORD_1
	v_fmac_f16_e32 v52, v28, v12
	v_fmac_f16_e32 v57, v56, v13
	v_fma_f16 v12, v56, v43, -v58
	v_fmac_f16_e32 v59, v27, v8
	v_fma_f16 v8, v27, v44, -v60
	;; [unrolled: 2-line block ×7, first 2 shown]
	v_add_f16_e32 v23, v49, v52
	v_add_f16_e32 v27, v40, v41
	v_sub_f16_e32 v24, v40, v41
	v_add_f16_e32 v25, v36, v40
	v_add_f16_e32 v32, v54, v57
	v_sub_f16_e32 v34, v35, v12
	v_add_f16_e32 v40, v37, v35
	v_add_f16_e32 v35, v35, v12
	;; [unrolled: 1-line block ×3, first 2 shown]
	v_sub_f16_e32 v28, v49, v52
	v_add_f16_e32 v45, v59, v61
	v_sub_f16_e32 v46, v8, v10
	v_add_f16_e32 v49, v38, v8
	v_add_f16_e32 v8, v8, v10
	;; [unrolled: 1-line block ×3, first 2 shown]
	v_sub_f16_e32 v43, v54, v57
	v_add_f16_e32 v44, v4, v59
	v_sub_f16_e32 v51, v59, v61
	v_add_f16_e32 v54, v14, v33
	;; [unrolled: 2-line block ×3, first 2 shown]
	v_add_f16_e32 v9, v9, v11
	v_add_f16_e32 v59, v42, v50
	v_sub_f16_e32 v60, v13, v15
	v_add_f16_e32 v62, v21, v13
	v_add_f16_e32 v13, v13, v15
	v_fma_f16 v6, -0.5, v23, v6
	v_fmac_f16_e32 v36, -0.5, v27
	v_add_f16_e32 v53, v5, v14
	v_fmac_f16_e32 v7, -0.5, v32
	v_fmac_f16_e32 v37, -0.5, v35
	v_fma_f16 v4, -0.5, v45, v4
	v_fmac_f16_e32 v38, -0.5, v8
	v_sub_f16_e32 v14, v14, v33
	v_add_f16_e32 v58, v18, v42
	v_sub_f16_e32 v42, v42, v50
	v_add_f16_e32 v52, v22, v52
	v_add_f16_e32 v41, v25, v41
	v_fmac_f16_e32 v5, -0.5, v54
	v_fmac_f16_e32 v39, -0.5, v9
	;; [unrolled: 1-line block ×4, first 2 shown]
	v_fmamk_f16 v9, v24, 0xbaee, v6
	v_fmamk_f16 v13, v28, 0x3aee, v36
	v_fmac_f16_e32 v6, 0x3aee, v24
	v_fmac_f16_e32 v36, 0xbaee, v28
	v_add_f16_e32 v27, v30, v57
	v_add_f16_e32 v12, v40, v12
	;; [unrolled: 1-line block ×5, first 2 shown]
	v_fmamk_f16 v15, v34, 0xbaee, v7
	v_fmamk_f16 v28, v43, 0x3aee, v37
	v_fmac_f16_e32 v7, 0x3aee, v34
	v_fmac_f16_e32 v37, 0xbaee, v43
	v_add_f16_e32 v30, v44, v61
	v_add_f16_e32 v10, v49, v10
	v_fmamk_f16 v32, v46, 0xbaee, v4
	v_fmamk_f16 v33, v51, 0x3aee, v38
	v_add_f16_e32 v22, v58, v50
	v_fmac_f16_e32 v4, 0x3aee, v46
	v_fmac_f16_e32 v38, 0xbaee, v51
	v_fmamk_f16 v34, v55, 0xbaee, v5
	v_fmac_f16_e32 v5, 0x3aee, v55
	v_fmamk_f16 v35, v14, 0x3aee, v39
	;; [unrolled: 2-line block ×4, first 2 shown]
	v_fmac_f16_e32 v21, 0xbaee, v42
	v_pack_b32_f16 v14, v52, v41
	v_pack_b32_f16 v9, v9, v13
	;; [unrolled: 1-line block ×12, first 2 shown]
	ds_write2_b32 v47, v14, v9 offset1:4
	ds_write_b32 v47, v6 offset:32
	ds_write2_b32 v31, v12, v11 offset1:4
	ds_write_b32 v31, v7 offset:32
	;; [unrolled: 2-line block ×4, first 2 shown]
	s_and_saveexec_b32 s1, s0
	s_cbranch_execz .LBB0_21
; %bb.20:
	v_lshrrev_b32_e32 v4, 2, v17
	v_perm_b32 v5, v23, v22, 0x5040100
	v_perm_b32 v6, v25, v24, 0x5040100
	;; [unrolled: 1-line block ×3, first 2 shown]
	v_mul_u32_u24_e32 v4, 12, v4
	v_or_b32_e32 v4, v4, v26
	v_lshl_add_u32 v4, v4, 2, 0
	ds_write2_b32 v4, v5, v6 offset1:4
	ds_write_b32 v4, v7 offset:32
.LBB0_21:
	s_or_b32 exec_lo, exec_lo, s1
	v_add_nc_u32_e32 v6, 0x800, v16
	v_add_nc_u32_e32 v7, 0x1200, v16
	;; [unrolled: 1-line block ×5, first 2 shown]
	s_waitcnt lgkmcnt(0)
	s_barrier
	buffer_gl0_inv
	ds_read2_b32 v[4:5], v16 offset1:126
	ds_read2_b32 v[14:15], v6 offset0:76 offset1:202
	ds_read2_b32 v[12:13], v7 offset0:24 offset1:150
	;; [unrolled: 1-line block ×5, first 2 shown]
	s_and_saveexec_b32 s1, s0
	s_cbranch_execz .LBB0_23
; %bb.22:
	ds_read_b32 v22, v16 offset:2016
	ds_read_b32 v24, v16 offset:4368
	;; [unrolled: 1-line block ×3, first 2 shown]
	s_waitcnt lgkmcnt(2)
	v_lshrrev_b32_e32 v23, 16, v22
	s_waitcnt lgkmcnt(1)
	v_lshrrev_b32_e32 v25, 16, v24
	;; [unrolled: 2-line block ×3, first 2 shown]
.LBB0_23:
	s_or_b32 exec_lo, exec_lo, s1
	v_and_b32_e32 v27, 0xff, v0
	v_and_b32_e32 v26, 0xff, v1
	v_mov_b32_e32 v28, 0xaaab
	v_mov_b32_e32 v54, 0x90
	s_waitcnt lgkmcnt(4)
	v_lshrrev_b32_e32 v50, 16, v14
	v_mul_lo_u16 v29, 0xab, v27
	v_mul_lo_u16 v30, 0xab, v26
	v_mul_u32_u24_sdwa v31, v20, v28 dst_sel:DWORD dst_unused:UNUSED_PAD src0_sel:WORD_0 src1_sel:DWORD
	v_mul_u32_u24_sdwa v32, v19, v28 dst_sel:DWORD dst_unused:UNUSED_PAD src0_sel:WORD_0 src1_sel:DWORD
	s_waitcnt lgkmcnt(3)
	v_lshrrev_b32_e32 v51, 16, v12
	v_lshrrev_b16 v38, 11, v29
	v_lshrrev_b16 v39, 11, v30
	v_lshrrev_b32_e32 v40, 19, v31
	v_lshrrev_b32_e32 v42, 19, v32
	v_mov_b32_e32 v29, 3
	v_mul_lo_u16 v30, v38, 12
	v_mul_lo_u16 v31, v39, 12
	v_mul_u32_u24_sdwa v38, v38, v54 dst_sel:DWORD dst_unused:UNUSED_PAD src0_sel:WORD_0 src1_sel:DWORD
	v_mul_lo_u16 v32, v42, 12
	v_mul_u32_u24_sdwa v39, v39, v54 dst_sel:DWORD dst_unused:UNUSED_PAD src0_sel:WORD_0 src1_sel:DWORD
	v_sub_nc_u16 v41, v0, v30
	v_mul_lo_u16 v30, v40, 12
	v_sub_nc_u16 v43, v1, v31
	v_sub_nc_u16 v44, v19, v32
	v_mul_u32_u24_e32 v40, 0x90, v40
	v_lshlrev_b32_sdwa v31, v29, v41 dst_sel:DWORD dst_unused:UNUSED_PAD src0_sel:DWORD src1_sel:BYTE_0
	v_sub_nc_u16 v20, v20, v30
	v_lshlrev_b32_sdwa v33, v29, v43 dst_sel:DWORD dst_unused:UNUSED_PAD src0_sel:DWORD src1_sel:BYTE_0
	v_lshlrev_b32_sdwa v36, v29, v44 dst_sel:DWORD dst_unused:UNUSED_PAD src0_sel:DWORD src1_sel:WORD_0
	v_mul_u32_u24_e32 v42, 0x90, v42
	global_load_dwordx2 v[30:31], v31, s[8:9] offset:40
	v_lshlrev_b32_sdwa v19, v29, v20 dst_sel:DWORD dst_unused:UNUSED_PAD src0_sel:DWORD src1_sel:WORD_0
	global_load_dwordx2 v[32:33], v33, s[8:9] offset:40
	v_lshrrev_b32_e32 v52, 16, v15
	v_lshrrev_b32_e32 v53, 16, v13
	s_clause 0x1
	global_load_dwordx2 v[34:35], v19, s[8:9] offset:40
	global_load_dwordx2 v[36:37], v36, s[8:9] offset:40
	v_mov_b32_e32 v19, 2
	s_waitcnt lgkmcnt(1)
	v_lshrrev_b32_e32 v55, 16, v10
	s_waitcnt lgkmcnt(0)
	v_lshrrev_b32_e32 v56, 16, v8
	v_lshrrev_b32_e32 v49, 16, v9
	;; [unrolled: 1-line block ×3, first 2 shown]
	v_lshlrev_b32_sdwa v41, v19, v41 dst_sel:DWORD dst_unused:UNUSED_PAD src0_sel:DWORD src1_sel:BYTE_0
	v_lshlrev_b32_sdwa v43, v19, v43 dst_sel:DWORD dst_unused:UNUSED_PAD src0_sel:DWORD src1_sel:BYTE_0
	v_lshlrev_b32_sdwa v20, v19, v20 dst_sel:DWORD dst_unused:UNUSED_PAD src0_sel:DWORD src1_sel:WORD_0
	v_lshlrev_b32_sdwa v44, v19, v44 dst_sel:DWORD dst_unused:UNUSED_PAD src0_sel:DWORD src1_sel:WORD_0
	v_lshrrev_b32_e32 v46, 16, v5
	v_add3_u32 v38, 0, v38, v41
	v_add3_u32 v39, 0, v39, v43
	;; [unrolled: 1-line block ×4, first 2 shown]
	v_lshrrev_b32_e32 v47, 16, v6
	v_lshrrev_b32_e32 v45, 16, v4
	;; [unrolled: 1-line block ×3, first 2 shown]
	s_waitcnt vmcnt(0)
	s_barrier
	buffer_gl0_inv
	v_mul_f16_sdwa v41, v30, v50 dst_sel:DWORD dst_unused:UNUSED_PAD src0_sel:WORD_1 src1_sel:DWORD
	v_mul_f16_sdwa v42, v30, v14 dst_sel:DWORD dst_unused:UNUSED_PAD src0_sel:WORD_1 src1_sel:DWORD
	;; [unrolled: 1-line block ×14, first 2 shown]
	v_mul_f16_sdwa v67, v49, v37 dst_sel:DWORD dst_unused:UNUSED_PAD src0_sel:DWORD src1_sel:WORD_1
	v_mul_f16_sdwa v68, v9, v37 dst_sel:DWORD dst_unused:UNUSED_PAD src0_sel:DWORD src1_sel:WORD_1
	v_fma_f16 v42, v30, v50, -v42
	v_fma_f16 v44, v31, v51, -v44
	v_fmac_f16_e32 v41, v30, v14
	v_fmac_f16_e32 v43, v31, v12
	;; [unrolled: 1-line block ×3, first 2 shown]
	v_fma_f16 v12, v32, v52, -v58
	v_fmac_f16_e32 v59, v33, v13
	v_fma_f16 v13, v33, v53, -v60
	v_fmac_f16_e32 v61, v34, v10
	;; [unrolled: 2-line block ×5, first 2 shown]
	v_fma_f16 v9, v49, v37, -v68
	v_add_f16_e32 v15, v41, v43
	v_add_f16_e32 v32, v42, v44
	v_add_f16_e32 v35, v54, v59
	v_sub_f16_e32 v36, v12, v13
	v_add_f16_e32 v37, v46, v12
	v_add_f16_e32 v12, v12, v13
	v_add_f16_e32 v49, v61, v63
	v_sub_f16_e32 v50, v10, v8
	;; [unrolled: 4-line block ×3, first 2 shown]
	v_add_f16_e32 v31, v45, v42
	v_sub_f16_e32 v33, v41, v43
	v_add_f16_e32 v34, v5, v54
	v_sub_f16_e32 v41, v54, v59
	v_add_f16_e32 v53, v7, v65
	v_add_f16_e32 v54, v65, v67
	v_sub_f16_e32 v55, v11, v9
	v_add_f16_e32 v56, v48, v11
	v_add_f16_e32 v11, v11, v9
	v_fma_f16 v4, -0.5, v15, v4
	v_fmac_f16_e32 v45, -0.5, v32
	v_fmac_f16_e32 v5, -0.5, v35
	;; [unrolled: 1-line block ×3, first 2 shown]
	v_add_f16_e32 v42, v6, v61
	v_sub_f16_e32 v52, v61, v63
	v_fma_f16 v6, -0.5, v49, v6
	v_fmac_f16_e32 v47, -0.5, v10
	v_sub_f16_e32 v57, v65, v67
	v_add_f16_e32 v14, v14, v43
	v_add_f16_e32 v15, v31, v44
	;; [unrolled: 1-line block ×3, first 2 shown]
	v_fmac_f16_e32 v7, -0.5, v54
	v_add_f16_e32 v9, v56, v9
	v_fmac_f16_e32 v48, -0.5, v11
	v_fmamk_f16 v11, v30, 0xbaee, v4
	v_fmac_f16_e32 v4, 0x3aee, v30
	v_fmamk_f16 v30, v33, 0x3aee, v45
	v_fmac_f16_e32 v45, 0xbaee, v33
	v_add_f16_e32 v31, v34, v59
	v_add_f16_e32 v13, v37, v13
	v_fmamk_f16 v32, v36, 0xbaee, v5
	v_fmamk_f16 v33, v41, 0x3aee, v46
	v_fmac_f16_e32 v5, 0x3aee, v36
	v_fmac_f16_e32 v46, 0xbaee, v41
	v_add_f16_e32 v12, v42, v63
	v_add_f16_e32 v8, v51, v8
	v_fmamk_f16 v34, v50, 0xbaee, v6
	v_fmamk_f16 v35, v52, 0x3aee, v47
	v_fmac_f16_e32 v6, 0x3aee, v50
	v_fmac_f16_e32 v47, 0xbaee, v52
	v_fmamk_f16 v36, v55, 0xbaee, v7
	v_fmac_f16_e32 v7, 0x3aee, v55
	v_fmamk_f16 v37, v57, 0x3aee, v48
	v_fmac_f16_e32 v48, 0xbaee, v57
	v_pack_b32_f16 v14, v14, v15
	v_pack_b32_f16 v9, v10, v9
	;; [unrolled: 1-line block ×12, first 2 shown]
	ds_write2_b32 v38, v14, v10 offset1:12
	ds_write_b32 v38, v4 offset:96
	ds_write2_b32 v39, v13, v11 offset1:12
	ds_write_b32 v39, v5 offset:96
	;; [unrolled: 2-line block ×4, first 2 shown]
	s_and_saveexec_b32 s1, s0
	s_cbranch_execz .LBB0_25
; %bb.24:
	v_mul_u32_u24_sdwa v4, v17, v28 dst_sel:DWORD dst_unused:UNUSED_PAD src0_sel:WORD_0 src1_sel:DWORD
	v_lshrrev_b32_e32 v6, 19, v4
	v_mul_lo_u16 v4, v6, 12
	v_mul_lo_u16 v6, v6, 36
	v_sub_nc_u16 v7, v17, v4
	v_lshlrev_b32_sdwa v6, v19, v6 dst_sel:DWORD dst_unused:UNUSED_PAD src0_sel:DWORD src1_sel:WORD_0
	v_lshlrev_b32_sdwa v4, v29, v7 dst_sel:DWORD dst_unused:UNUSED_PAD src0_sel:DWORD src1_sel:WORD_0
	;; [unrolled: 1-line block ×3, first 2 shown]
	global_load_dwordx2 v[4:5], v4, s[8:9] offset:40
	v_add3_u32 v6, 0, v7, v6
	s_waitcnt vmcnt(0)
	v_mul_f16_sdwa v8, v25, v4 dst_sel:DWORD dst_unused:UNUSED_PAD src0_sel:DWORD src1_sel:WORD_1
	v_mul_f16_sdwa v9, v21, v5 dst_sel:DWORD dst_unused:UNUSED_PAD src0_sel:DWORD src1_sel:WORD_1
	;; [unrolled: 1-line block ×4, first 2 shown]
	v_fmac_f16_e32 v8, v24, v4
	v_fmac_f16_e32 v9, v18, v5
	v_fma_f16 v4, v25, v4, -v10
	v_fma_f16 v5, v21, v5, -v11
	v_add_f16_e32 v12, v8, v9
	v_sub_f16_e32 v10, v8, v9
	v_add_f16_e32 v11, v4, v5
	v_sub_f16_e32 v13, v4, v5
	v_add_f16_e32 v4, v23, v4
	v_add_f16_e32 v8, v22, v8
	v_fma_f16 v12, -0.5, v12, v22
	v_fma_f16 v11, -0.5, v11, v23
	v_add_f16_e32 v4, v4, v5
	v_add_f16_e32 v5, v8, v9
	v_fmamk_f16 v9, v13, 0xbaee, v12
	v_fmamk_f16 v8, v10, 0x3aee, v11
	v_fmac_f16_e32 v11, 0xbaee, v10
	v_fmac_f16_e32 v12, 0x3aee, v13
	v_pack_b32_f16 v4, v5, v4
	v_pack_b32_f16 v5, v9, v8
	v_pack_b32_f16 v7, v12, v11
	ds_write2_b32 v6, v4, v5 offset1:12
	ds_write_b32 v6, v7 offset:96
.LBB0_25:
	s_or_b32 exec_lo, exec_lo, s1
	v_mul_lo_u16 v4, v27, 57
	v_mul_lo_u16 v5, v26, 57
	v_mov_b32_e32 v6, 6
	s_waitcnt lgkmcnt(0)
	s_barrier
	v_lshrrev_b16 v15, 11, v4
	v_lshrrev_b16 v39, 11, v5
	buffer_gl0_inv
	v_add_nc_u32_e32 v7, 0xe00, v16
	v_add_nc_u32_e32 v8, 0x1200, v16
	v_mul_lo_u16 v4, v15, 36
	v_mul_lo_u16 v5, v39, 36
	v_mov_b32_e32 v42, 0x3f0
	v_mul_u32_u24_e32 v41, 6, v0
	v_sub_nc_u16 v38, v0, v4
	v_sub_nc_u16 v40, v1, v5
	v_add_nc_u32_e32 v5, 0x600, v16
	v_mul_u32_u24_sdwa v15, v15, v42 dst_sel:DWORD dst_unused:UNUSED_PAD src0_sel:WORD_0 src1_sel:DWORD
	v_mul_u32_u24_sdwa v39, v39, v42 dst_sel:DWORD dst_unused:UNUSED_PAD src0_sel:WORD_0 src1_sel:DWORD
	v_mul_u32_u24_sdwa v4, v38, v6 dst_sel:DWORD dst_unused:UNUSED_PAD src0_sel:BYTE_0 src1_sel:DWORD
	v_mul_u32_u24_sdwa v1, v40, v6 dst_sel:DWORD dst_unused:UNUSED_PAD src0_sel:BYTE_0 src1_sel:DWORD
	v_add_nc_u32_e32 v6, 0xa00, v16
	v_lshlrev_b32_sdwa v38, v19, v38 dst_sel:DWORD dst_unused:UNUSED_PAD src0_sel:DWORD src1_sel:BYTE_0
	v_lshlrev_b32_sdwa v19, v19, v40 dst_sel:DWORD dst_unused:UNUSED_PAD src0_sel:DWORD src1_sel:BYTE_0
	v_lshlrev_b32_e32 v4, 2, v4
	v_lshlrev_b32_e32 v1, 2, v1
	v_lshlrev_b32_e32 v41, 2, v41
	v_add3_u32 v15, 0, v15, v38
	v_add3_u32 v19, 0, v39, v19
	s_clause 0x3
	global_load_dwordx4 v[9:12], v4, s[8:9] offset:136
	global_load_dwordx2 v[13:14], v4, s[8:9] offset:152
	global_load_dwordx4 v[20:23], v1, s[8:9] offset:136
	global_load_dwordx2 v[17:18], v1, s[8:9] offset:152
	v_add_nc_u32_e32 v1, 0x1600, v16
	v_add_nc_u32_e32 v4, 0x200, v16
	ds_read2_b32 v[24:25], v1 offset0:104 offset1:230
	ds_read2_b32 v[26:27], v4 offset0:124 offset1:250
	;; [unrolled: 1-line block ×6, first 2 shown]
	ds_read2_b32 v[36:37], v16 offset1:126
	s_waitcnt vmcnt(0) lgkmcnt(0)
	s_barrier
	buffer_gl0_inv
	v_lshrrev_b32_e32 v40, 16, v24
	v_lshrrev_b32_e32 v45, 16, v26
	;; [unrolled: 1-line block ×12, first 2 shown]
	v_mul_f16_sdwa v59, v13, v34 dst_sel:DWORD dst_unused:UNUSED_PAD src0_sel:WORD_1 src1_sel:DWORD
	v_mul_f16_sdwa v38, v9, v26 dst_sel:DWORD dst_unused:UNUSED_PAD src0_sel:WORD_1 src1_sel:DWORD
	;; [unrolled: 1-line block ×7, first 2 shown]
	v_mul_f16_sdwa v60, v24, v14 dst_sel:DWORD dst_unused:UNUSED_PAD src0_sel:DWORD src1_sel:WORD_1
	v_mul_f16_sdwa v61, v13, v52 dst_sel:DWORD dst_unused:UNUSED_PAD src0_sel:WORD_1 src1_sel:DWORD
	v_mul_f16_sdwa v62, v40, v14 dst_sel:DWORD dst_unused:UNUSED_PAD src0_sel:DWORD src1_sel:WORD_1
	v_mul_f16_sdwa v55, v11, v30 dst_sel:DWORD dst_unused:UNUSED_PAD src0_sel:WORD_1 src1_sel:DWORD
	v_mul_f16_sdwa v56, v12, v32 dst_sel:DWORD dst_unused:UNUSED_PAD src0_sel:WORD_1 src1_sel:DWORD
	v_mul_f16_sdwa v63, v42, v20 dst_sel:DWORD dst_unused:UNUSED_PAD src0_sel:DWORD src1_sel:WORD_1
	v_mul_f16_sdwa v64, v43, v21 dst_sel:DWORD dst_unused:UNUSED_PAD src0_sel:DWORD src1_sel:WORD_1
	;; [unrolled: 1-line block ×11, first 2 shown]
	v_fma_f16 v38, v9, v45, -v38
	v_fma_f16 v45, v10, v46, -v53
	v_fmac_f16_e32 v39, v9, v26
	v_fmac_f16_e32 v54, v10, v28
	;; [unrolled: 1-line block ×4, first 2 shown]
	v_fma_f16 v9, v13, v52, -v59
	v_fma_f16 v10, v40, v14, -v60
	v_fmac_f16_e32 v61, v13, v34
	v_fmac_f16_e32 v62, v24, v14
	v_mul_f16_sdwa v66, v44, v22 dst_sel:DWORD dst_unused:UNUSED_PAD src0_sel:DWORD src1_sel:WORD_1
	v_fma_f16 v46, v11, v47, -v55
	v_fma_f16 v47, v12, v48, -v56
	v_fmac_f16_e32 v63, v27, v20
	v_fmac_f16_e32 v64, v29, v21
	v_fma_f16 v11, v42, v20, -v65
	v_fma_f16 v12, v43, v21, -v67
	v_fmac_f16_e32 v71, v35, v17
	v_fma_f16 v17, v50, v17, -v72
	v_fmac_f16_e32 v73, v25, v18
	v_fma_f16 v18, v51, v18, -v74
	v_fma_f16 v13, v44, v22, -v68
	v_fmac_f16_e32 v69, v33, v23
	v_fma_f16 v14, v49, v23, -v70
	v_add_f16_e32 v20, v39, v62
	v_add_f16_e32 v21, v38, v10
	;; [unrolled: 1-line block ×5, first 2 shown]
	v_fmac_f16_e32 v66, v31, v22
	v_sub_f16_e32 v10, v38, v10
	v_sub_f16_e32 v25, v54, v61
	;; [unrolled: 1-line block ×3, first 2 shown]
	v_add_f16_e32 v27, v46, v47
	v_sub_f16_e32 v28, v58, v57
	v_sub_f16_e32 v29, v47, v46
	v_add_f16_e32 v30, v63, v73
	v_add_f16_e32 v31, v11, v18
	v_sub_f16_e32 v11, v11, v18
	v_add_f16_e32 v18, v64, v71
	v_add_f16_e32 v33, v12, v17
	v_sub_f16_e32 v22, v39, v62
	v_add_f16_e32 v35, v13, v14
	v_sub_f16_e32 v13, v14, v13
	v_add_f16_e32 v14, v23, v20
	v_add_f16_e32 v39, v24, v21
	v_sub_f16_e32 v40, v23, v20
	v_sub_f16_e32 v20, v20, v26
	;; [unrolled: 1-line block ×6, first 2 shown]
	v_add_f16_e32 v17, v66, v69
	v_sub_f16_e32 v38, v69, v66
	v_sub_f16_e32 v42, v24, v21
	;; [unrolled: 1-line block ×4, first 2 shown]
	v_add_f16_e32 v43, v28, v25
	v_add_f16_e32 v44, v29, v9
	v_sub_f16_e32 v45, v28, v25
	v_sub_f16_e32 v46, v29, v9
	v_sub_f16_e32 v9, v9, v10
	v_add_f16_e32 v47, v18, v30
	v_add_f16_e32 v48, v33, v31
	;; [unrolled: 1-line block ×4, first 2 shown]
	v_mul_f16_e32 v20, 0x3a52, v20
	v_mul_f16_e32 v27, 0x2b26, v23
	v_sub_f16_e32 v25, v25, v22
	v_sub_f16_e32 v49, v18, v30
	;; [unrolled: 1-line block ×3, first 2 shown]
	v_add_f16_e32 v51, v38, v34
	v_sub_f16_e32 v53, v38, v34
	v_sub_f16_e32 v34, v34, v32
	;; [unrolled: 1-line block ×8, first 2 shown]
	v_add_f16_e32 v52, v13, v12
	v_sub_f16_e32 v54, v13, v12
	v_sub_f16_e32 v12, v12, v11
	v_add_f16_e32 v22, v43, v22
	v_add_f16_e32 v10, v44, v10
	v_mul_f16_e32 v21, 0x3a52, v21
	v_mul_f16_e32 v39, 0x2b26, v24
	;; [unrolled: 1-line block ×4, first 2 shown]
	v_add_f16_e32 v17, v17, v47
	v_mul_f16_e32 v46, 0xbb00, v9
	v_add_f16_e32 v35, v35, v48
	v_fmamk_f16 v23, v23, 0x2b26, v20
	v_fma_f16 v27, v40, 0x39e0, -v27
	v_fma_f16 v20, v40, 0xb9e0, -v20
	v_add_f16_e32 v40, v14, v36
	v_add_f16_sdwa v36, v26, v36 dst_sel:DWORD dst_unused:UNUSED_PAD src0_sel:DWORD src1_sel:WORD_1
	v_sub_f16_e32 v38, v32, v38
	v_mul_f16_e32 v45, 0xbb00, v25
	v_add_f16_e32 v32, v51, v32
	v_mul_f16_e32 v47, 0x2b26, v18
	v_mul_f16_e32 v51, 0x3846, v53
	;; [unrolled: 1-line block ×3, first 2 shown]
	v_sub_f16_e32 v13, v11, v13
	v_add_f16_e32 v11, v52, v11
	v_mul_f16_e32 v30, 0x3a52, v30
	v_mul_f16_e32 v31, 0x3a52, v31
	;; [unrolled: 1-line block ×5, first 2 shown]
	v_fmamk_f16 v24, v24, 0x2b26, v21
	v_fma_f16 v39, v42, 0x39e0, -v39
	v_fma_f16 v21, v42, 0xb9e0, -v21
	;; [unrolled: 1-line block ×3, first 2 shown]
	v_fmamk_f16 v42, v28, 0xb574, v43
	v_fma_f16 v9, v9, 0xbb00, -v44
	v_fmamk_f16 v43, v29, 0xb574, v44
	v_fma_f16 v29, v29, 0x3574, -v46
	v_add_f16_e32 v44, v17, v37
	v_add_f16_sdwa v37, v35, v37 dst_sel:DWORD dst_unused:UNUSED_PAD src0_sel:DWORD src1_sel:WORD_1
	v_fmamk_f16 v14, v14, 0xbcab, v40
	v_fmamk_f16 v26, v26, 0xbcab, v36
	v_fma_f16 v28, v28, 0x3574, -v45
	v_fma_f16 v45, v49, 0x39e0, -v47
	v_fmamk_f16 v47, v38, 0xb574, v51
	v_fma_f16 v34, v34, 0xbb00, -v51
	v_fma_f16 v38, v38, 0x3574, -v53
	v_fmamk_f16 v18, v18, 0x2b26, v30
	v_fmamk_f16 v33, v33, 0x2b26, v31
	v_fma_f16 v46, v50, 0x39e0, -v48
	v_fma_f16 v30, v49, 0xb9e0, -v30
	;; [unrolled: 1-line block ×3, first 2 shown]
	v_fmamk_f16 v48, v13, 0xb574, v52
	v_fma_f16 v13, v13, 0x3574, -v54
	v_fmac_f16_e32 v43, 0xb70e, v10
	v_fmac_f16_e32 v9, 0xb70e, v10
	;; [unrolled: 1-line block ×3, first 2 shown]
	v_fmamk_f16 v10, v17, 0xbcab, v44
	v_fmamk_f16 v17, v35, 0xbcab, v37
	v_fma_f16 v12, v12, 0xbb00, -v52
	v_fmac_f16_e32 v42, 0xb70e, v22
	v_add_f16_e32 v23, v23, v14
	v_add_f16_e32 v24, v24, v26
	v_fmac_f16_e32 v25, 0xb70e, v22
	v_fmac_f16_e32 v28, 0xb70e, v22
	;; [unrolled: 1-line block ×5, first 2 shown]
	v_add_f16_e32 v27, v27, v14
	v_add_f16_e32 v32, v39, v26
	;; [unrolled: 1-line block ×4, first 2 shown]
	v_fmac_f16_e32 v48, 0xb70e, v11
	v_fmac_f16_e32 v13, 0xb70e, v11
	v_add_f16_e32 v18, v18, v10
	v_add_f16_e32 v21, v33, v17
	;; [unrolled: 1-line block ×6, first 2 shown]
	v_fmac_f16_e32 v12, 0xb70e, v11
	v_add_f16_e32 v30, v43, v23
	v_sub_f16_e32 v31, v24, v42
	v_pack_b32_f16 v11, v40, v36
	v_pack_b32_f16 v22, v44, v37
	v_add_f16_e32 v35, v29, v14
	v_sub_f16_e32 v36, v20, v28
	v_sub_f16_e32 v37, v27, v9
	v_add_f16_e32 v39, v25, v32
	v_add_f16_e32 v9, v9, v27
	v_sub_f16_e32 v25, v32, v25
	v_sub_f16_e32 v14, v14, v29
	v_add_f16_e32 v20, v28, v20
	v_sub_f16_e32 v23, v23, v43
	v_add_f16_e32 v24, v42, v24
	v_add_f16_e32 v27, v48, v18
	v_sub_f16_e32 v28, v21, v47
	v_add_f16_e32 v29, v13, v10
	v_sub_f16_e32 v32, v17, v38
	v_sub_f16_e32 v10, v10, v13
	v_add_f16_e32 v13, v38, v17
	v_sub_f16_e32 v17, v18, v48
	v_add_f16_e32 v18, v47, v21
	;; [unrolled: 2-line block ×3, first 2 shown]
	v_add_f16_e32 v12, v12, v26
	v_sub_f16_e32 v26, v33, v34
	v_pack_b32_f16 v21, v30, v31
	v_pack_b32_f16 v30, v35, v36
	;; [unrolled: 1-line block ×12, first 2 shown]
	ds_write2_b32 v15, v11, v21 offset1:36
	ds_write2_b32 v15, v30, v31 offset0:72 offset1:108
	ds_write2_b32 v15, v9, v14 offset0:144 offset1:180
	ds_write_b32 v15, v20 offset:864
	ds_write2_b32 v19, v22, v23 offset1:36
	ds_write2_b32 v19, v24, v25 offset0:72 offset1:108
	ds_write2_b32 v19, v12, v10 offset0:144 offset1:180
	ds_write_b32 v19, v13 offset:864
	v_add_co_u32 v13, s0, s8, v41
	v_add_co_ci_u32_e64 v14, null, s9, 0, s0
	s_waitcnt lgkmcnt(0)
	v_add_co_u32 v13, s0, 0xbd0, v13
	v_add_co_ci_u32_e64 v14, s0, 0, v14, s0
	s_barrier
	buffer_gl0_inv
	s_clause 0x3
	global_load_dwordx4 v[9:12], v41, s[8:9] offset:1000
	global_load_dwordx2 v[21:22], v41, s[8:9] offset:1016
	global_load_dwordx4 v[17:20], v[13:14], off offset:1000
	global_load_dwordx2 v[13:14], v[13:14], off offset:1016
	ds_read2_b32 v[23:24], v1 offset0:104 offset1:230
	ds_read2_b32 v[25:26], v4 offset0:124 offset1:250
	;; [unrolled: 1-line block ×6, first 2 shown]
	ds_read2_b32 v[35:36], v16 offset1:126
	s_waitcnt vmcnt(0) lgkmcnt(0)
	s_barrier
	buffer_gl0_inv
	v_lshrrev_b32_e32 v15, 16, v23
	v_lshrrev_b32_e32 v37, 16, v26
	;; [unrolled: 1-line block ×12, first 2 shown]
	v_mul_f16_sdwa v56, v21, v47 dst_sel:DWORD dst_unused:UNUSED_PAD src0_sel:WORD_1 src1_sel:DWORD
	v_mul_f16_sdwa v48, v9, v43 dst_sel:DWORD dst_unused:UNUSED_PAD src0_sel:WORD_1 src1_sel:DWORD
	;; [unrolled: 1-line block ×10, first 2 shown]
	v_mul_f16_sdwa v58, v15, v22 dst_sel:DWORD dst_unused:UNUSED_PAD src0_sel:DWORD src1_sel:WORD_1
	v_mul_f16_sdwa v59, v23, v22 dst_sel:DWORD dst_unused:UNUSED_PAD src0_sel:DWORD src1_sel:WORD_1
	;; [unrolled: 1-line block ×14, first 2 shown]
	v_fma_f16 v43, v9, v43, -v49
	v_fma_f16 v44, v10, v44, -v51
	;; [unrolled: 1-line block ×4, first 2 shown]
	v_fmac_f16_e32 v48, v9, v25
	v_fmac_f16_e32 v50, v10, v27
	;; [unrolled: 1-line block ×4, first 2 shown]
	v_fma_f16 v9, v21, v47, -v57
	v_fma_f16 v10, v15, v22, -v59
	v_fmac_f16_e32 v56, v21, v33
	v_fmac_f16_e32 v58, v23, v22
	;; [unrolled: 1-line block ×4, first 2 shown]
	v_fma_f16 v11, v37, v17, -v61
	v_fma_f16 v12, v38, v18, -v63
	v_fmac_f16_e32 v68, v34, v13
	v_fma_f16 v13, v41, v13, -v69
	v_fmac_f16_e32 v70, v24, v14
	;; [unrolled: 2-line block ×4, first 2 shown]
	v_fma_f16 v17, v40, v20, -v67
	v_add_f16_e32 v18, v48, v58
	v_add_f16_e32 v19, v43, v10
	v_sub_f16_e32 v10, v43, v10
	v_add_f16_e32 v21, v50, v56
	v_add_f16_e32 v22, v44, v9
	v_sub_f16_e32 v23, v50, v56
	v_sub_f16_e32 v9, v44, v9
	v_add_f16_e32 v24, v52, v55
	v_add_f16_e32 v25, v45, v46
	v_sub_f16_e32 v26, v55, v52
	;; [unrolled: 4-line block ×3, first 2 shown]
	v_add_f16_e32 v14, v62, v68
	v_add_f16_e32 v31, v12, v13
	v_sub_f16_e32 v20, v48, v58
	v_sub_f16_e32 v32, v62, v68
	v_sub_f16_e32 v12, v12, v13
	v_add_f16_e32 v13, v64, v66
	v_add_f16_e32 v33, v15, v17
	v_sub_f16_e32 v34, v66, v64
	v_sub_f16_e32 v15, v17, v15
	v_add_f16_e32 v17, v21, v18
	v_add_f16_e32 v37, v22, v19
	v_sub_f16_e32 v38, v21, v18
	v_sub_f16_e32 v39, v22, v19
	;; [unrolled: 1-line block ×6, first 2 shown]
	v_add_f16_e32 v40, v26, v23
	v_add_f16_e32 v41, v27, v9
	v_sub_f16_e32 v42, v26, v23
	v_sub_f16_e32 v43, v27, v9
	;; [unrolled: 1-line block ×3, first 2 shown]
	v_add_f16_e32 v44, v14, v28
	v_add_f16_e32 v45, v31, v29
	v_sub_f16_e32 v30, v60, v70
	v_sub_f16_e32 v26, v20, v26
	;; [unrolled: 1-line block ×10, first 2 shown]
	v_add_f16_e32 v48, v34, v32
	v_add_f16_e32 v49, v15, v12
	v_sub_f16_e32 v50, v34, v32
	v_sub_f16_e32 v51, v15, v12
	;; [unrolled: 1-line block ×3, first 2 shown]
	v_add_f16_e32 v17, v24, v17
	v_add_f16_e32 v24, v25, v37
	;; [unrolled: 1-line block ×4, first 2 shown]
	v_mul_f16_e32 v18, 0x3a52, v18
	v_mul_f16_e32 v19, 0x3a52, v19
	;; [unrolled: 1-line block ×7, first 2 shown]
	v_add_f16_e32 v13, v13, v44
	v_add_f16_e32 v33, v33, v45
	v_sub_f16_e32 v32, v32, v30
	v_sub_f16_e32 v34, v30, v34
	;; [unrolled: 1-line block ×3, first 2 shown]
	v_mul_f16_e32 v42, 0xbb00, v23
	v_add_f16_e32 v30, v48, v30
	v_add_f16_e32 v11, v49, v11
	v_mul_f16_e32 v28, 0x3a52, v28
	v_mul_f16_e32 v29, 0x3a52, v29
	;; [unrolled: 1-line block ×6, first 2 shown]
	v_add_f16_e32 v52, v17, v35
	v_add_f16_sdwa v35, v24, v35 dst_sel:DWORD dst_unused:UNUSED_PAD src0_sel:DWORD src1_sel:WORD_1
	v_fmamk_f16 v21, v21, 0x2b26, v18
	v_fmamk_f16 v22, v22, 0x2b26, v19
	v_fma_f16 v25, v38, 0x39e0, -v25
	v_fma_f16 v37, v39, 0x39e0, -v37
	;; [unrolled: 1-line block ×4, first 2 shown]
	v_fmamk_f16 v38, v26, 0xb574, v40
	v_fmamk_f16 v39, v27, 0xb574, v41
	v_fma_f16 v23, v23, 0xbb00, -v40
	v_fma_f16 v9, v9, 0xbb00, -v41
	;; [unrolled: 1-line block ×3, first 2 shown]
	v_add_f16_e32 v40, v13, v36
	v_add_f16_sdwa v36, v33, v36 dst_sel:DWORD dst_unused:UNUSED_PAD src0_sel:DWORD src1_sel:WORD_1
	v_mul_f16_e32 v45, 0x2b26, v31
	v_mul_f16_e32 v50, 0xbb00, v32
	v_fma_f16 v26, v26, 0x3574, -v42
	v_fmamk_f16 v14, v14, 0x2b26, v28
	v_fmamk_f16 v31, v31, 0x2b26, v29
	v_fma_f16 v41, v46, 0x39e0, -v44
	v_fmamk_f16 v43, v34, 0xb574, v48
	v_fmamk_f16 v44, v15, 0xb574, v49
	v_fma_f16 v12, v12, 0xbb00, -v49
	v_fma_f16 v15, v15, 0x3574, -v51
	v_fmamk_f16 v17, v17, 0xbcab, v52
	v_fmamk_f16 v24, v24, 0xbcab, v35
	v_fmac_f16_e32 v39, 0xb70e, v10
	v_fmac_f16_e32 v9, 0xb70e, v10
	v_fmac_f16_e32 v27, 0xb70e, v10
	v_fmamk_f16 v10, v13, 0xbcab, v40
	v_fmamk_f16 v13, v33, 0xbcab, v36
	v_fma_f16 v42, v47, 0x39e0, -v45
	v_fma_f16 v28, v46, 0xb9e0, -v28
	;; [unrolled: 1-line block ×5, first 2 shown]
	v_fmac_f16_e32 v38, 0xb70e, v20
	v_fmac_f16_e32 v23, 0xb70e, v20
	v_fmac_f16_e32 v26, 0xb70e, v20
	v_fmac_f16_e32 v43, 0xb70e, v30
	v_fmac_f16_e32 v44, 0xb70e, v11
	v_fmac_f16_e32 v12, 0xb70e, v11
	v_fmac_f16_e32 v15, 0xb70e, v11
	v_pack_b32_f16 v11, v52, v35
	v_pack_b32_f16 v20, v40, v36
	v_add_f16_e32 v21, v21, v17
	v_add_f16_e32 v22, v22, v24
	;; [unrolled: 1-line block ×7, first 2 shown]
	v_fmac_f16_e32 v32, 0xb70e, v30
	v_fmac_f16_e32 v34, 0xb70e, v30
	v_add_f16_e32 v30, v37, v24
	v_add_f16_e32 v24, v41, v10
	;; [unrolled: 1-line block ×5, first 2 shown]
	ds_write2_b32 v16, v11, v20 offset1:126
	v_add_f16_e32 v11, v39, v21
	v_sub_f16_e32 v16, v22, v38
	v_add_f16_e32 v20, v27, v17
	v_sub_f16_e32 v28, v18, v26
	v_sub_f16_e32 v29, v25, v9
	v_add_f16_e32 v9, v9, v25
	v_add_f16_e32 v18, v26, v18
	;; [unrolled: 1-line block ×3, first 2 shown]
	v_sub_f16_e32 v26, v19, v43
	v_add_f16_e32 v33, v23, v30
	v_sub_f16_e32 v23, v30, v23
	v_sub_f16_e32 v17, v17, v27
	;; [unrolled: 1-line block ×3, first 2 shown]
	v_add_f16_e32 v22, v38, v22
	v_add_f16_e32 v27, v15, v10
	v_sub_f16_e32 v30, v13, v34
	v_sub_f16_e32 v35, v24, v12
	v_add_f16_e32 v36, v32, v31
	v_add_f16_e32 v12, v12, v24
	v_sub_f16_e32 v24, v31, v32
	v_sub_f16_e32 v10, v10, v15
	v_add_f16_e32 v13, v34, v13
	v_sub_f16_e32 v14, v14, v44
	v_add_f16_e32 v15, v43, v19
	v_pack_b32_f16 v11, v11, v16
	v_pack_b32_f16 v16, v20, v28
	;; [unrolled: 1-line block ×12, first 2 shown]
	ds_write2_b32 v4, v11, v20 offset0:124 offset1:250
	ds_write2_b32 v5, v16, v21 offset0:120 offset1:246
	;; [unrolled: 1-line block ×6, first 2 shown]
	s_waitcnt lgkmcnt(0)
	s_barrier
	buffer_gl0_inv
	s_and_saveexec_b32 s0, vcc_lo
	s_cbranch_execz .LBB0_27
; %bb.26:
	v_lshl_add_u32 v18, v0, 2, 0
	v_mov_b32_e32 v1, 0
	v_add_co_u32 v19, vcc_lo, s2, v2
	v_add_co_ci_u32_e32 v20, vcc_lo, s3, v3, vcc_lo
	ds_read2_b32 v[4:5], v18 offset1:126
	v_lshlrev_b64 v[10:11], 2, v[0:1]
	v_add_nc_u32_e32 v2, 0x7e, v0
	v_mov_b32_e32 v3, v1
	v_add_nc_u32_e32 v12, 0x200, v18
	v_add_nc_u32_e32 v13, 0x600, v18
	;; [unrolled: 1-line block ×3, first 2 shown]
	v_add_co_u32 v10, vcc_lo, v19, v10
	v_add_co_ci_u32_e32 v11, vcc_lo, v20, v11, vcc_lo
	v_mov_b32_e32 v7, v1
	v_lshlrev_b64 v[2:3], 2, v[2:3]
	v_add_nc_u32_e32 v8, 0x17a, v0
	v_mov_b32_e32 v9, v1
	ds_read2_b32 v[14:15], v13 offset0:120 offset1:246
	v_lshlrev_b64 v[6:7], 2, v[6:7]
	v_mov_b32_e32 v13, v1
	v_add_co_u32 v2, vcc_lo, v19, v2
	s_waitcnt lgkmcnt(1)
	global_store_dword v[10:11], v4, off
	ds_read2_b32 v[10:11], v12 offset0:124 offset1:250
	v_add_nc_u32_e32 v12, 0x1f8, v0
	v_lshlrev_b64 v[8:9], 2, v[8:9]
	v_add_co_ci_u32_e32 v3, vcc_lo, v20, v3, vcc_lo
	v_add_co_u32 v6, vcc_lo, v19, v6
	v_lshlrev_b64 v[12:13], 2, v[12:13]
	v_add_co_ci_u32_e32 v7, vcc_lo, v20, v7, vcc_lo
	v_add_co_u32 v8, vcc_lo, v19, v8
	v_add_co_ci_u32_e32 v9, vcc_lo, v20, v9, vcc_lo
	v_add_co_u32 v12, vcc_lo, v19, v12
	v_add_co_ci_u32_e32 v13, vcc_lo, v20, v13, vcc_lo
	v_add_nc_u32_e32 v16, 0x276, v0
	v_mov_b32_e32 v17, v1
	global_store_dword v[2:3], v5, off
	s_waitcnt lgkmcnt(0)
	global_store_dword v[6:7], v10, off
	global_store_dword v[8:9], v11, off
	;; [unrolled: 1-line block ×3, first 2 shown]
	v_add_nc_u32_e32 v8, 0xa00, v18
	v_add_nc_u32_e32 v11, 0xe00, v18
	;; [unrolled: 1-line block ×3, first 2 shown]
	v_mov_b32_e32 v5, v1
	v_lshlrev_b64 v[2:3], 2, v[16:17]
	ds_read2_b32 v[8:9], v8 offset0:116 offset1:242
	v_add_nc_u32_e32 v6, 0x372, v0
	v_mov_b32_e32 v7, v1
	ds_read2_b32 v[12:13], v11 offset0:112 offset1:238
	v_lshlrev_b64 v[4:5], 2, v[4:5]
	v_add_nc_u32_e32 v10, 0x3f0, v0
	v_mov_b32_e32 v11, v1
	v_add_co_u32 v2, vcc_lo, v19, v2
	v_lshlrev_b64 v[6:7], 2, v[6:7]
	v_add_co_ci_u32_e32 v3, vcc_lo, v20, v3, vcc_lo
	v_add_co_u32 v4, vcc_lo, v19, v4
	v_lshlrev_b64 v[10:11], 2, v[10:11]
	v_add_co_ci_u32_e32 v5, vcc_lo, v20, v5, vcc_lo
	v_add_co_u32 v6, vcc_lo, v19, v6
	v_add_co_ci_u32_e32 v7, vcc_lo, v20, v7, vcc_lo
	v_add_co_u32 v10, vcc_lo, v19, v10
	v_add_co_ci_u32_e32 v11, vcc_lo, v20, v11, vcc_lo
	v_add_nc_u32_e32 v16, 0x46e, v0
	global_store_dword v[2:3], v15, off
	s_waitcnt lgkmcnt(1)
	global_store_dword v[4:5], v8, off
	global_store_dword v[6:7], v9, off
	s_waitcnt lgkmcnt(0)
	global_store_dword v[10:11], v12, off
	v_add_nc_u32_e32 v8, 0x1200, v18
	v_add_nc_u32_e32 v4, 0x4ec, v0
	v_mov_b32_e32 v5, v1
	v_add_nc_u32_e32 v12, 0x1600, v18
	v_lshlrev_b64 v[2:3], 2, v[16:17]
	v_add_nc_u32_e32 v6, 0x56a, v0
	v_mov_b32_e32 v7, v1
	ds_read2_b32 v[8:9], v8 offset0:108 offset1:234
	v_lshlrev_b64 v[4:5], 2, v[4:5]
	v_add_nc_u32_e32 v10, 0x5e8, v0
	v_mov_b32_e32 v11, v1
	ds_read2_b32 v[14:15], v12 offset0:104 offset1:230
	v_add_co_u32 v2, vcc_lo, v19, v2
	v_lshlrev_b64 v[6:7], 2, v[6:7]
	v_add_nc_u32_e32 v0, 0x666, v0
	v_add_co_ci_u32_e32 v3, vcc_lo, v20, v3, vcc_lo
	v_add_co_u32 v4, vcc_lo, v19, v4
	v_lshlrev_b64 v[10:11], 2, v[10:11]
	v_add_co_ci_u32_e32 v5, vcc_lo, v20, v5, vcc_lo
	v_add_co_u32 v6, vcc_lo, v19, v6
	v_lshlrev_b64 v[0:1], 2, v[0:1]
	v_add_co_ci_u32_e32 v7, vcc_lo, v20, v7, vcc_lo
	v_add_co_u32 v10, vcc_lo, v19, v10
	v_add_co_ci_u32_e32 v11, vcc_lo, v20, v11, vcc_lo
	v_add_co_u32 v0, vcc_lo, v19, v0
	v_add_co_ci_u32_e32 v1, vcc_lo, v20, v1, vcc_lo
	global_store_dword v[2:3], v13, off
	s_waitcnt lgkmcnt(1)
	global_store_dword v[4:5], v8, off
	global_store_dword v[6:7], v9, off
	s_waitcnt lgkmcnt(0)
	global_store_dword v[10:11], v14, off
	global_store_dword v[0:1], v15, off
.LBB0_27:
	s_endpgm
	.section	.rodata,"a",@progbits
	.p2align	6, 0x0
	.amdhsa_kernel fft_rtc_back_len1764_factors_2_2_3_3_7_7_wgs_126_tpt_126_halfLds_half_ip_CI_unitstride_sbrr_C2R_dirReg
		.amdhsa_group_segment_fixed_size 0
		.amdhsa_private_segment_fixed_size 0
		.amdhsa_kernarg_size 88
		.amdhsa_user_sgpr_count 6
		.amdhsa_user_sgpr_private_segment_buffer 1
		.amdhsa_user_sgpr_dispatch_ptr 0
		.amdhsa_user_sgpr_queue_ptr 0
		.amdhsa_user_sgpr_kernarg_segment_ptr 1
		.amdhsa_user_sgpr_dispatch_id 0
		.amdhsa_user_sgpr_flat_scratch_init 0
		.amdhsa_user_sgpr_private_segment_size 0
		.amdhsa_wavefront_size32 1
		.amdhsa_uses_dynamic_stack 0
		.amdhsa_system_sgpr_private_segment_wavefront_offset 0
		.amdhsa_system_sgpr_workgroup_id_x 1
		.amdhsa_system_sgpr_workgroup_id_y 0
		.amdhsa_system_sgpr_workgroup_id_z 0
		.amdhsa_system_sgpr_workgroup_info 0
		.amdhsa_system_vgpr_workitem_id 0
		.amdhsa_next_free_vgpr 75
		.amdhsa_next_free_sgpr 21
		.amdhsa_reserve_vcc 1
		.amdhsa_reserve_flat_scratch 0
		.amdhsa_float_round_mode_32 0
		.amdhsa_float_round_mode_16_64 0
		.amdhsa_float_denorm_mode_32 3
		.amdhsa_float_denorm_mode_16_64 3
		.amdhsa_dx10_clamp 1
		.amdhsa_ieee_mode 1
		.amdhsa_fp16_overflow 0
		.amdhsa_workgroup_processor_mode 1
		.amdhsa_memory_ordered 1
		.amdhsa_forward_progress 0
		.amdhsa_shared_vgpr_count 0
		.amdhsa_exception_fp_ieee_invalid_op 0
		.amdhsa_exception_fp_denorm_src 0
		.amdhsa_exception_fp_ieee_div_zero 0
		.amdhsa_exception_fp_ieee_overflow 0
		.amdhsa_exception_fp_ieee_underflow 0
		.amdhsa_exception_fp_ieee_inexact 0
		.amdhsa_exception_int_div_zero 0
	.end_amdhsa_kernel
	.text
.Lfunc_end0:
	.size	fft_rtc_back_len1764_factors_2_2_3_3_7_7_wgs_126_tpt_126_halfLds_half_ip_CI_unitstride_sbrr_C2R_dirReg, .Lfunc_end0-fft_rtc_back_len1764_factors_2_2_3_3_7_7_wgs_126_tpt_126_halfLds_half_ip_CI_unitstride_sbrr_C2R_dirReg
                                        ; -- End function
	.section	.AMDGPU.csdata,"",@progbits
; Kernel info:
; codeLenInByte = 10920
; NumSgprs: 23
; NumVgprs: 75
; ScratchSize: 0
; MemoryBound: 0
; FloatMode: 240
; IeeeMode: 1
; LDSByteSize: 0 bytes/workgroup (compile time only)
; SGPRBlocks: 2
; VGPRBlocks: 9
; NumSGPRsForWavesPerEU: 23
; NumVGPRsForWavesPerEU: 75
; Occupancy: 12
; WaveLimiterHint : 1
; COMPUTE_PGM_RSRC2:SCRATCH_EN: 0
; COMPUTE_PGM_RSRC2:USER_SGPR: 6
; COMPUTE_PGM_RSRC2:TRAP_HANDLER: 0
; COMPUTE_PGM_RSRC2:TGID_X_EN: 1
; COMPUTE_PGM_RSRC2:TGID_Y_EN: 0
; COMPUTE_PGM_RSRC2:TGID_Z_EN: 0
; COMPUTE_PGM_RSRC2:TIDIG_COMP_CNT: 0
	.text
	.p2alignl 6, 3214868480
	.fill 48, 4, 3214868480
	.type	__hip_cuid_ee175cc63937de6a,@object ; @__hip_cuid_ee175cc63937de6a
	.section	.bss,"aw",@nobits
	.globl	__hip_cuid_ee175cc63937de6a
__hip_cuid_ee175cc63937de6a:
	.byte	0                               ; 0x0
	.size	__hip_cuid_ee175cc63937de6a, 1

	.ident	"AMD clang version 19.0.0git (https://github.com/RadeonOpenCompute/llvm-project roc-6.4.0 25133 c7fe45cf4b819c5991fe208aaa96edf142730f1d)"
	.section	".note.GNU-stack","",@progbits
	.addrsig
	.addrsig_sym __hip_cuid_ee175cc63937de6a
	.amdgpu_metadata
---
amdhsa.kernels:
  - .args:
      - .actual_access:  read_only
        .address_space:  global
        .offset:         0
        .size:           8
        .value_kind:     global_buffer
      - .offset:         8
        .size:           8
        .value_kind:     by_value
      - .actual_access:  read_only
        .address_space:  global
        .offset:         16
        .size:           8
        .value_kind:     global_buffer
      - .actual_access:  read_only
        .address_space:  global
        .offset:         24
        .size:           8
        .value_kind:     global_buffer
      - .offset:         32
        .size:           8
        .value_kind:     by_value
      - .actual_access:  read_only
        .address_space:  global
        .offset:         40
        .size:           8
        .value_kind:     global_buffer
      - .actual_access:  read_only
        .address_space:  global
        .offset:         48
        .size:           8
        .value_kind:     global_buffer
      - .offset:         56
        .size:           4
        .value_kind:     by_value
      - .actual_access:  read_only
        .address_space:  global
        .offset:         64
        .size:           8
        .value_kind:     global_buffer
      - .actual_access:  read_only
        .address_space:  global
        .offset:         72
        .size:           8
        .value_kind:     global_buffer
      - .address_space:  global
        .offset:         80
        .size:           8
        .value_kind:     global_buffer
    .group_segment_fixed_size: 0
    .kernarg_segment_align: 8
    .kernarg_segment_size: 88
    .language:       OpenCL C
    .language_version:
      - 2
      - 0
    .max_flat_workgroup_size: 126
    .name:           fft_rtc_back_len1764_factors_2_2_3_3_7_7_wgs_126_tpt_126_halfLds_half_ip_CI_unitstride_sbrr_C2R_dirReg
    .private_segment_fixed_size: 0
    .sgpr_count:     23
    .sgpr_spill_count: 0
    .symbol:         fft_rtc_back_len1764_factors_2_2_3_3_7_7_wgs_126_tpt_126_halfLds_half_ip_CI_unitstride_sbrr_C2R_dirReg.kd
    .uniform_work_group_size: 1
    .uses_dynamic_stack: false
    .vgpr_count:     75
    .vgpr_spill_count: 0
    .wavefront_size: 32
    .workgroup_processor_mode: 1
amdhsa.target:   amdgcn-amd-amdhsa--gfx1030
amdhsa.version:
  - 1
  - 2
...

	.end_amdgpu_metadata
